;; amdgpu-corpus repo=ROCm/rocFFT kind=compiled arch=gfx906 opt=O3
	.text
	.amdgcn_target "amdgcn-amd-amdhsa--gfx906"
	.amdhsa_code_object_version 6
	.protected	fft_rtc_fwd_len2025_factors_3_3_5_5_3_3_wgs_135_tpt_135_halfLds_half_ip_CI_unitstride_sbrr_dirReg ; -- Begin function fft_rtc_fwd_len2025_factors_3_3_5_5_3_3_wgs_135_tpt_135_halfLds_half_ip_CI_unitstride_sbrr_dirReg
	.globl	fft_rtc_fwd_len2025_factors_3_3_5_5_3_3_wgs_135_tpt_135_halfLds_half_ip_CI_unitstride_sbrr_dirReg
	.p2align	8
	.type	fft_rtc_fwd_len2025_factors_3_3_5_5_3_3_wgs_135_tpt_135_halfLds_half_ip_CI_unitstride_sbrr_dirReg,@function
fft_rtc_fwd_len2025_factors_3_3_5_5_3_3_wgs_135_tpt_135_halfLds_half_ip_CI_unitstride_sbrr_dirReg: ; @fft_rtc_fwd_len2025_factors_3_3_5_5_3_3_wgs_135_tpt_135_halfLds_half_ip_CI_unitstride_sbrr_dirReg
; %bb.0:
	s_load_dwordx2 s[2:3], s[4:5], 0x50
	s_load_dwordx4 s[8:11], s[4:5], 0x0
	s_load_dwordx2 s[12:13], s[4:5], 0x18
	v_mul_u32_u24_e32 v1, 0x1e6, v0
	v_add_u32_sdwa v5, s6, v1 dst_sel:DWORD dst_unused:UNUSED_PAD src0_sel:DWORD src1_sel:WORD_1
	v_mov_b32_e32 v3, 0
	s_waitcnt lgkmcnt(0)
	v_cmp_lt_u64_e64 s[0:1], s[10:11], 2
	v_mov_b32_e32 v1, 0
	v_mov_b32_e32 v6, v3
	s_and_b64 vcc, exec, s[0:1]
	v_mov_b32_e32 v2, 0
	s_cbranch_vccnz .LBB0_8
; %bb.1:
	s_load_dwordx2 s[0:1], s[4:5], 0x10
	s_add_u32 s6, s12, 8
	s_addc_u32 s7, s13, 0
	v_mov_b32_e32 v1, 0
	v_mov_b32_e32 v2, 0
	s_waitcnt lgkmcnt(0)
	s_add_u32 s14, s0, 8
	s_addc_u32 s15, s1, 0
	s_mov_b64 s[16:17], 1
.LBB0_2:                                ; =>This Inner Loop Header: Depth=1
	s_load_dwordx2 s[18:19], s[14:15], 0x0
                                        ; implicit-def: $vgpr7_vgpr8
	s_waitcnt lgkmcnt(0)
	v_or_b32_e32 v4, s19, v6
	v_cmp_ne_u64_e32 vcc, 0, v[3:4]
	s_and_saveexec_b64 s[0:1], vcc
	s_xor_b64 s[20:21], exec, s[0:1]
	s_cbranch_execz .LBB0_4
; %bb.3:                                ;   in Loop: Header=BB0_2 Depth=1
	v_cvt_f32_u32_e32 v4, s18
	v_cvt_f32_u32_e32 v7, s19
	s_sub_u32 s0, 0, s18
	s_subb_u32 s1, 0, s19
	v_mac_f32_e32 v4, 0x4f800000, v7
	v_rcp_f32_e32 v4, v4
	v_mul_f32_e32 v4, 0x5f7ffffc, v4
	v_mul_f32_e32 v7, 0x2f800000, v4
	v_trunc_f32_e32 v7, v7
	v_mac_f32_e32 v4, 0xcf800000, v7
	v_cvt_u32_f32_e32 v7, v7
	v_cvt_u32_f32_e32 v4, v4
	v_mul_lo_u32 v8, s0, v7
	v_mul_hi_u32 v9, s0, v4
	v_mul_lo_u32 v11, s1, v4
	v_mul_lo_u32 v10, s0, v4
	v_add_u32_e32 v8, v9, v8
	v_add_u32_e32 v8, v8, v11
	v_mul_hi_u32 v9, v4, v10
	v_mul_lo_u32 v11, v4, v8
	v_mul_hi_u32 v13, v4, v8
	v_mul_hi_u32 v12, v7, v10
	v_mul_lo_u32 v10, v7, v10
	v_mul_hi_u32 v14, v7, v8
	v_add_co_u32_e32 v9, vcc, v9, v11
	v_addc_co_u32_e32 v11, vcc, 0, v13, vcc
	v_mul_lo_u32 v8, v7, v8
	v_add_co_u32_e32 v9, vcc, v9, v10
	v_addc_co_u32_e32 v9, vcc, v11, v12, vcc
	v_addc_co_u32_e32 v10, vcc, 0, v14, vcc
	v_add_co_u32_e32 v8, vcc, v9, v8
	v_addc_co_u32_e32 v9, vcc, 0, v10, vcc
	v_add_co_u32_e32 v4, vcc, v4, v8
	v_addc_co_u32_e32 v7, vcc, v7, v9, vcc
	v_mul_lo_u32 v8, s0, v7
	v_mul_hi_u32 v9, s0, v4
	v_mul_lo_u32 v10, s1, v4
	v_mul_lo_u32 v11, s0, v4
	v_add_u32_e32 v8, v9, v8
	v_add_u32_e32 v8, v8, v10
	v_mul_lo_u32 v12, v4, v8
	v_mul_hi_u32 v13, v4, v11
	v_mul_hi_u32 v14, v4, v8
	;; [unrolled: 1-line block ×3, first 2 shown]
	v_mul_lo_u32 v11, v7, v11
	v_mul_hi_u32 v9, v7, v8
	v_add_co_u32_e32 v12, vcc, v13, v12
	v_addc_co_u32_e32 v13, vcc, 0, v14, vcc
	v_mul_lo_u32 v8, v7, v8
	v_add_co_u32_e32 v11, vcc, v12, v11
	v_addc_co_u32_e32 v10, vcc, v13, v10, vcc
	v_addc_co_u32_e32 v9, vcc, 0, v9, vcc
	v_add_co_u32_e32 v8, vcc, v10, v8
	v_addc_co_u32_e32 v9, vcc, 0, v9, vcc
	v_add_co_u32_e32 v4, vcc, v4, v8
	v_addc_co_u32_e32 v9, vcc, v7, v9, vcc
	v_mad_u64_u32 v[7:8], s[0:1], v5, v9, 0
	v_mul_hi_u32 v10, v5, v4
	v_add_co_u32_e32 v11, vcc, v10, v7
	v_addc_co_u32_e32 v12, vcc, 0, v8, vcc
	v_mad_u64_u32 v[7:8], s[0:1], v6, v4, 0
	v_mad_u64_u32 v[9:10], s[0:1], v6, v9, 0
	v_add_co_u32_e32 v4, vcc, v11, v7
	v_addc_co_u32_e32 v4, vcc, v12, v8, vcc
	v_addc_co_u32_e32 v7, vcc, 0, v10, vcc
	v_add_co_u32_e32 v4, vcc, v4, v9
	v_addc_co_u32_e32 v9, vcc, 0, v7, vcc
	v_mul_lo_u32 v10, s19, v4
	v_mul_lo_u32 v11, s18, v9
	v_mad_u64_u32 v[7:8], s[0:1], s18, v4, 0
	v_add3_u32 v8, v8, v11, v10
	v_sub_u32_e32 v10, v6, v8
	v_mov_b32_e32 v11, s19
	v_sub_co_u32_e32 v7, vcc, v5, v7
	v_subb_co_u32_e64 v10, s[0:1], v10, v11, vcc
	v_subrev_co_u32_e64 v11, s[0:1], s18, v7
	v_subbrev_co_u32_e64 v10, s[0:1], 0, v10, s[0:1]
	v_cmp_le_u32_e64 s[0:1], s19, v10
	v_cndmask_b32_e64 v12, 0, -1, s[0:1]
	v_cmp_le_u32_e64 s[0:1], s18, v11
	v_cndmask_b32_e64 v11, 0, -1, s[0:1]
	v_cmp_eq_u32_e64 s[0:1], s19, v10
	v_cndmask_b32_e64 v10, v12, v11, s[0:1]
	v_add_co_u32_e64 v11, s[0:1], 2, v4
	v_addc_co_u32_e64 v12, s[0:1], 0, v9, s[0:1]
	v_add_co_u32_e64 v13, s[0:1], 1, v4
	v_addc_co_u32_e64 v14, s[0:1], 0, v9, s[0:1]
	v_subb_co_u32_e32 v8, vcc, v6, v8, vcc
	v_cmp_ne_u32_e64 s[0:1], 0, v10
	v_cmp_le_u32_e32 vcc, s19, v8
	v_cndmask_b32_e64 v10, v14, v12, s[0:1]
	v_cndmask_b32_e64 v12, 0, -1, vcc
	v_cmp_le_u32_e32 vcc, s18, v7
	v_cndmask_b32_e64 v7, 0, -1, vcc
	v_cmp_eq_u32_e32 vcc, s19, v8
	v_cndmask_b32_e32 v7, v12, v7, vcc
	v_cmp_ne_u32_e32 vcc, 0, v7
	v_cndmask_b32_e64 v7, v13, v11, s[0:1]
	v_cndmask_b32_e32 v8, v9, v10, vcc
	v_cndmask_b32_e32 v7, v4, v7, vcc
.LBB0_4:                                ;   in Loop: Header=BB0_2 Depth=1
	s_andn2_saveexec_b64 s[0:1], s[20:21]
	s_cbranch_execz .LBB0_6
; %bb.5:                                ;   in Loop: Header=BB0_2 Depth=1
	v_cvt_f32_u32_e32 v4, s18
	s_sub_i32 s20, 0, s18
	v_rcp_iflag_f32_e32 v4, v4
	v_mul_f32_e32 v4, 0x4f7ffffe, v4
	v_cvt_u32_f32_e32 v4, v4
	v_mul_lo_u32 v7, s20, v4
	v_mul_hi_u32 v7, v4, v7
	v_add_u32_e32 v4, v4, v7
	v_mul_hi_u32 v4, v5, v4
	v_mul_lo_u32 v7, v4, s18
	v_add_u32_e32 v8, 1, v4
	v_sub_u32_e32 v7, v5, v7
	v_subrev_u32_e32 v9, s18, v7
	v_cmp_le_u32_e32 vcc, s18, v7
	v_cndmask_b32_e32 v7, v7, v9, vcc
	v_cndmask_b32_e32 v4, v4, v8, vcc
	v_add_u32_e32 v8, 1, v4
	v_cmp_le_u32_e32 vcc, s18, v7
	v_cndmask_b32_e32 v7, v4, v8, vcc
	v_mov_b32_e32 v8, v3
.LBB0_6:                                ;   in Loop: Header=BB0_2 Depth=1
	s_or_b64 exec, exec, s[0:1]
	v_mul_lo_u32 v4, v8, s18
	v_mul_lo_u32 v11, v7, s19
	v_mad_u64_u32 v[9:10], s[0:1], v7, s18, 0
	s_load_dwordx2 s[0:1], s[6:7], 0x0
	s_add_u32 s16, s16, 1
	v_add3_u32 v4, v10, v11, v4
	v_sub_co_u32_e32 v5, vcc, v5, v9
	v_subb_co_u32_e32 v4, vcc, v6, v4, vcc
	s_waitcnt lgkmcnt(0)
	v_mul_lo_u32 v4, s0, v4
	v_mul_lo_u32 v6, s1, v5
	v_mad_u64_u32 v[1:2], s[0:1], s0, v5, v[1:2]
	s_addc_u32 s17, s17, 0
	s_add_u32 s6, s6, 8
	v_add3_u32 v2, v6, v2, v4
	v_mov_b32_e32 v4, s10
	v_mov_b32_e32 v5, s11
	s_addc_u32 s7, s7, 0
	v_cmp_ge_u64_e32 vcc, s[16:17], v[4:5]
	s_add_u32 s14, s14, 8
	s_addc_u32 s15, s15, 0
	s_cbranch_vccnz .LBB0_9
; %bb.7:                                ;   in Loop: Header=BB0_2 Depth=1
	v_mov_b32_e32 v5, v7
	v_mov_b32_e32 v6, v8
	s_branch .LBB0_2
.LBB0_8:
	v_mov_b32_e32 v8, v6
	v_mov_b32_e32 v7, v5
.LBB0_9:
	s_lshl_b64 s[0:1], s[10:11], 3
	s_add_u32 s0, s12, s0
	s_addc_u32 s1, s13, s1
	s_load_dwordx2 s[6:7], s[0:1], 0x0
	s_load_dwordx2 s[10:11], s[4:5], 0x20
                                        ; implicit-def: $vgpr9
                                        ; implicit-def: $vgpr12
                                        ; implicit-def: $vgpr6
                                        ; implicit-def: $vgpr18
                                        ; implicit-def: $vgpr19
                                        ; implicit-def: $vgpr17
                                        ; implicit-def: $vgpr25
                                        ; implicit-def: $vgpr16
                                        ; implicit-def: $vgpr22
                                        ; implicit-def: $vgpr23
                                        ; implicit-def: $vgpr14
                                        ; implicit-def: $vgpr29
                                        ; implicit-def: $vgpr24
                                        ; implicit-def: $vgpr26
                                        ; implicit-def: $vgpr13
                                        ; implicit-def: $vgpr27
                                        ; implicit-def: $vgpr15
                                        ; implicit-def: $vgpr32
                                        ; implicit-def: $vgpr28
                                        ; implicit-def: $vgpr30
                                        ; implicit-def: $vgpr20
                                        ; implicit-def: $vgpr31
                                        ; implicit-def: $vgpr21
	s_waitcnt lgkmcnt(0)
	v_mad_u64_u32 v[1:2], s[0:1], s6, v7, v[1:2]
	v_mul_lo_u32 v3, s6, v8
	v_mul_lo_u32 v4, s7, v7
	s_mov_b32 s0, 0x1e573ad
	v_mul_hi_u32 v5, v0, s0
	v_cmp_gt_u64_e32 vcc, s[10:11], v[7:8]
	v_add3_u32 v2, v4, v2, v3
	v_lshlrev_b64 v[10:11], 2, v[1:2]
	v_mul_u32_u24_e32 v3, 0x87, v5
	v_sub_u32_e32 v8, v0, v3
                                        ; implicit-def: $vgpr0
                                        ; implicit-def: $vgpr2
                                        ; implicit-def: $vgpr1
                                        ; implicit-def: $vgpr5
                                        ; implicit-def: $vgpr3
                                        ; implicit-def: $vgpr4
                                        ; implicit-def: $vgpr7
	s_and_saveexec_b64 s[4:5], vcc
	s_cbranch_execz .LBB0_11
; %bb.10:
	v_mov_b32_e32 v9, 0
	v_mov_b32_e32 v0, s3
	v_add_co_u32_e64 v2, s[0:1], s2, v10
	v_addc_co_u32_e64 v3, s[0:1], v0, v11, s[0:1]
	v_lshlrev_b64 v[0:1], 2, v[8:9]
	v_add_co_u32_e64 v17, s[0:1], v2, v0
	v_addc_co_u32_e64 v18, s[0:1], v3, v1, s[0:1]
	s_movk_i32 s0, 0x1000
	v_add_co_u32_e64 v22, s[0:1], s0, v17
	v_addc_co_u32_e64 v23, s[0:1], 0, v18, s[0:1]
	global_load_dword v21, v[17:18], off
	global_load_dword v15, v[17:18], off offset:540
	global_load_dword v20, v[17:18], off offset:2700
	;; [unrolled: 1-line block ×14, first 2 shown]
	s_waitcnt vmcnt(14)
	v_lshrrev_b32_e32 v31, 16, v21
	s_waitcnt vmcnt(13)
	v_lshrrev_b32_e32 v27, 16, v15
	;; [unrolled: 2-line block ×15, first 2 shown]
.LBB0_11:
	s_or_b64 exec, exec, s[4:5]
	v_add_f16_e32 v34, v28, v20
	v_add_f16_e32 v33, v20, v21
	v_fma_f16 v21, v34, -0.5, v21
	v_sub_f16_e32 v34, v30, v32
	s_movk_i32 s4, 0x3aee
	s_mov_b32 s5, 0xbaee
	v_fma_f16 v35, v34, s4, v21
	v_fma_f16 v21, v34, s5, v21
	v_add_f16_e32 v34, v30, v31
	v_add_f16_e32 v30, v32, v30
	v_fma_f16 v30, v30, -0.5, v31
	v_sub_f16_e32 v20, v20, v28
	v_add_f16_e32 v31, v24, v13
	v_add_f16_e32 v33, v28, v33
	v_fma_f16 v28, v20, s5, v30
	v_fma_f16 v20, v20, s4, v30
	v_add_f16_e32 v30, v13, v15
	v_fma_f16 v15, v31, -0.5, v15
	v_sub_f16_e32 v31, v26, v29
	v_add_f16_e32 v34, v32, v34
	v_fma_f16 v32, v31, s4, v15
	v_fma_f16 v15, v31, s5, v15
	v_add_f16_e32 v31, v26, v27
	v_add_f16_e32 v26, v29, v26
	v_fma_f16 v26, v26, -0.5, v27
	v_sub_f16_e32 v13, v13, v24
	v_add_f16_e32 v27, v16, v7
	v_add_f16_e32 v30, v24, v30
	v_fma_f16 v24, v13, s5, v26
	v_fma_f16 v13, v13, s4, v26
	v_add_f16_e32 v26, v7, v14
	v_fma_f16 v14, v27, -0.5, v14
	v_sub_f16_e32 v27, v22, v25
	v_add_f16_e32 v31, v29, v31
	;; [unrolled: 14-line block ×3, first 2 shown]
	v_fma_f16 v25, v23, s4, v4
	v_fma_f16 v4, v23, s5, v4
	v_add_f16_e32 v23, v19, v17
	v_add_f16_e32 v23, v18, v23
	;; [unrolled: 1-line block ×3, first 2 shown]
	v_fma_f16 v17, v18, -0.5, v17
	v_sub_f16_e32 v3, v3, v5
	v_add_f16_e32 v18, v0, v2
	v_add_f16_e32 v22, v5, v22
	v_fma_f16 v5, v3, s5, v17
	v_fma_f16 v3, v3, s4, v17
	v_add_f16_e32 v17, v2, v1
	v_fma_f16 v1, v18, -0.5, v1
	v_sub_f16_e32 v18, v12, v9
	v_fma_f16 v19, v18, s4, v1
	v_fma_f16 v1, v18, s5, v1
	v_add_f16_e32 v18, v12, v6
	v_add_f16_e32 v18, v9, v18
	;; [unrolled: 1-line block ×4, first 2 shown]
	v_fma_f16 v6, v9, -0.5, v6
	v_sub_f16_e32 v0, v2, v0
	v_fma_f16 v2, v0, s5, v6
	v_fma_f16 v6, v0, s4, v6
	v_mad_u32_u24 v12, v8, 6, 0
	v_lshlrev_b32_e32 v0, 2, v8
	v_sub_u32_e32 v9, v12, v0
	s_movk_i32 s0, 0xab
	ds_write_b16 v12, v33
	ds_write_b16 v12, v35 offset:2
	ds_write_b16 v12, v21 offset:4
	;; [unrolled: 1-line block ×14, first 2 shown]
	s_waitcnt lgkmcnt(0)
	s_barrier
	ds_read_u16 v21, v9 offset:1620
	ds_read_u16 v22, v9 offset:1890
	ds_read_u16 v25, v9
	ds_read_u16 v26, v9 offset:270
	ds_read_u16 v29, v9 offset:540
	;; [unrolled: 1-line block ×12, first 2 shown]
	s_waitcnt lgkmcnt(0)
	s_barrier
	ds_write_b16 v12, v34
	ds_write_b16 v12, v28 offset:2
	ds_write_b16 v12, v20 offset:4
	;; [unrolled: 1-line block ×14, first 2 shown]
	v_mul_lo_u16_sdwa v2, v8, s0 dst_sel:DWORD dst_unused:UNUSED_PAD src0_sel:BYTE_0 src1_sel:DWORD
	v_lshrrev_b16_e32 v20, 9, v2
	v_mul_lo_u16_e32 v2, 3, v20
	v_sub_u16_e32 v23, v8, v2
	v_mov_b32_e32 v2, 3
	v_add_u32_e32 v17, 0x87, v8
	s_mov_b32 s0, 0xaaab
	v_lshlrev_b32_sdwa v2, v2, v23 dst_sel:DWORD dst_unused:UNUSED_PAD src0_sel:DWORD src1_sel:BYTE_0
	v_mul_u32_u24_sdwa v4, v17, s0 dst_sel:DWORD dst_unused:UNUSED_PAD src0_sel:WORD_0 src1_sel:DWORD
	s_waitcnt lgkmcnt(0)
	s_barrier
	global_load_dwordx2 v[2:3], v2, s[8:9]
	v_lshrrev_b32_e32 v24, 17, v4
	v_mul_lo_u16_e32 v4, 3, v24
	v_sub_u16_e32 v27, v17, v4
	v_add_u32_e32 v14, 0x10e, v8
	v_lshlrev_b32_e32 v4, 3, v27
	global_load_dwordx2 v[4:5], v4, s[8:9]
	v_mul_u32_u24_sdwa v6, v14, s0 dst_sel:DWORD dst_unused:UNUSED_PAD src0_sel:WORD_0 src1_sel:DWORD
	v_lshrrev_b32_e32 v28, 17, v6
	v_mul_lo_u16_e32 v6, 3, v28
	v_sub_u16_e32 v31, v14, v6
	v_add_u32_e32 v15, 0x195, v8
	v_lshlrev_b32_e32 v6, 3, v31
	global_load_dwordx2 v[6:7], v6, s[8:9]
	v_mul_u32_u24_sdwa v12, v15, s0 dst_sel:DWORD dst_unused:UNUSED_PAD src0_sel:WORD_0 src1_sel:DWORD
	;; [unrolled: 7-line block ×3, first 2 shown]
	v_lshrrev_b32_e32 v41, 17, v18
	v_mul_lo_u16_e32 v18, 3, v41
	v_sub_u16_e32 v42, v16, v18
	v_lshlrev_b32_e32 v18, 3, v42
	global_load_dwordx2 v[18:19], v18, s[8:9]
	ds_read_u16 v43, v9 offset:1350
	ds_read_u16 v44, v9 offset:1620
	;; [unrolled: 1-line block ×3, first 2 shown]
	ds_read_u16 v46, v9
	ds_read_u16 v47, v9 offset:270
	ds_read_u16 v48, v9 offset:540
	;; [unrolled: 1-line block ×4, first 2 shown]
	v_mul_u32_u24_e32 v20, 18, v20
	s_mov_b32 s0, 0xe38f
	s_movk_i32 s1, 0x3b9c
	s_mov_b32 s7, 0xbb9c
	s_mov_b32 s10, 0xb8b4
	s_movk_i32 s6, 0x34f2
	s_movk_i32 s11, 0x6d
	s_waitcnt vmcnt(4) lgkmcnt(7)
	v_mul_f16_sdwa v51, v43, v2 dst_sel:DWORD dst_unused:UNUSED_PAD src0_sel:DWORD src1_sel:WORD_1
	v_fma_f16 v51, v32, v2, -v51
	v_mul_f16_sdwa v32, v32, v2 dst_sel:DWORD dst_unused:UNUSED_PAD src0_sel:DWORD src1_sel:WORD_1
	v_fma_f16 v2, v43, v2, v32
	ds_read_u16 v32, v9 offset:2160
	ds_read_u16 v43, v9 offset:2700
	;; [unrolled: 1-line block ×7, first 2 shown]
	s_waitcnt lgkmcnt(5)
	v_mul_f16_sdwa v57, v43, v3 dst_sel:DWORD dst_unused:UNUSED_PAD src0_sel:DWORD src1_sel:WORD_1
	v_fma_f16 v57, v38, v3, -v57
	v_mul_f16_sdwa v38, v38, v3 dst_sel:DWORD dst_unused:UNUSED_PAD src0_sel:DWORD src1_sel:WORD_1
	v_fma_f16 v3, v43, v3, v38
	s_waitcnt vmcnt(3)
	v_mul_f16_sdwa v38, v44, v4 dst_sel:DWORD dst_unused:UNUSED_PAD src0_sel:DWORD src1_sel:WORD_1
	v_fma_f16 v38, v21, v4, -v38
	v_mul_f16_sdwa v21, v21, v4 dst_sel:DWORD dst_unused:UNUSED_PAD src0_sel:DWORD src1_sel:WORD_1
	v_fma_f16 v4, v44, v4, v21
	s_waitcnt lgkmcnt(4)
	v_mul_f16_sdwa v21, v52, v5 dst_sel:DWORD dst_unused:UNUSED_PAD src0_sel:DWORD src1_sel:WORD_1
	v_fma_f16 v43, v33, v5, -v21
	v_mul_f16_sdwa v21, v33, v5 dst_sel:DWORD dst_unused:UNUSED_PAD src0_sel:DWORD src1_sel:WORD_1
	v_fma_f16 v5, v52, v5, v21
	s_waitcnt vmcnt(2)
	v_mul_f16_sdwa v21, v45, v6 dst_sel:DWORD dst_unused:UNUSED_PAD src0_sel:DWORD src1_sel:WORD_1
	v_fma_f16 v44, v22, v6, -v21
	v_mul_f16_sdwa v21, v22, v6 dst_sel:DWORD dst_unused:UNUSED_PAD src0_sel:DWORD src1_sel:WORD_1
	v_fma_f16 v6, v45, v6, v21
	;; [unrolled: 10-line block ×3, first 2 shown]
	s_waitcnt lgkmcnt(2)
	v_mul_f16_sdwa v12, v54, v13 dst_sel:DWORD dst_unused:UNUSED_PAD src0_sel:DWORD src1_sel:WORD_1
	v_fma_f16 v53, v36, v13, -v12
	v_mul_f16_sdwa v12, v36, v13 dst_sel:DWORD dst_unused:UNUSED_PAD src0_sel:DWORD src1_sel:WORD_1
	v_fma_f16 v13, v54, v13, v12
	s_waitcnt vmcnt(0) lgkmcnt(0)
	v_mul_f16_sdwa v12, v56, v18 dst_sel:DWORD dst_unused:UNUSED_PAD src0_sel:DWORD src1_sel:WORD_1
	v_fma_f16 v54, v39, v18, -v12
	v_mul_f16_sdwa v12, v39, v18 dst_sel:DWORD dst_unused:UNUSED_PAD src0_sel:DWORD src1_sel:WORD_1
	v_fma_f16 v39, v56, v18, v12
	v_mul_f16_sdwa v12, v55, v19 dst_sel:DWORD dst_unused:UNUSED_PAD src0_sel:DWORD src1_sel:WORD_1
	v_fma_f16 v56, v37, v19, -v12
	v_mul_f16_sdwa v12, v37, v19 dst_sel:DWORD dst_unused:UNUSED_PAD src0_sel:DWORD src1_sel:WORD_1
	v_fma_f16 v37, v55, v19, v12
	v_add_f16_e32 v12, v51, v57
	v_fma_f16 v12, v12, -0.5, v25
	v_sub_f16_e32 v18, v2, v3
	v_fma_f16 v19, v18, s4, v12
	v_fma_f16 v18, v18, s5, v12
	v_add_f16_e32 v12, v46, v2
	v_add_f16_e32 v2, v2, v3
	;; [unrolled: 1-line block ×3, first 2 shown]
	v_fma_f16 v2, v2, -0.5, v46
	v_sub_f16_e32 v12, v51, v57
	v_fma_f16 v46, v12, s5, v2
	v_fma_f16 v2, v12, s4, v2
	v_add_f16_e32 v12, v38, v43
	v_fma_f16 v12, v12, -0.5, v26
	v_sub_f16_e32 v21, v4, v5
	v_fma_f16 v22, v21, s4, v12
	v_fma_f16 v21, v21, s5, v12
	v_add_f16_e32 v12, v44, v45
	v_add_f16_e32 v3, v25, v51
	v_fma_f16 v12, v12, -0.5, v29
	v_sub_f16_e32 v25, v6, v7
	v_fma_f16 v30, v25, s4, v12
	v_fma_f16 v25, v25, s5, v12
	v_add_f16_e32 v12, v35, v53
	v_fma_f16 v12, v12, -0.5, v1
	v_sub_f16_e32 v32, v52, v13
	v_fma_f16 v33, v32, s4, v12
	v_fma_f16 v32, v32, s5, v12
	;; [unrolled: 5-line block ×3, first 2 shown]
	v_mov_b32_e32 v12, 1
	v_lshlrev_b32_sdwa v23, v12, v23 dst_sel:DWORD dst_unused:UNUSED_PAD src0_sel:DWORD src1_sel:BYTE_0
	v_add_f16_e32 v3, v3, v57
	v_add3_u32 v57, 0, v20, v23
	s_barrier
	ds_write_b16 v57, v3
	ds_write_b16 v57, v19 offset:6
	ds_write_b16 v57, v18 offset:12
	v_lshlrev_b32_e32 v3, 1, v27
	v_mul_u32_u24_e32 v18, 18, v24
	v_add3_u32 v3, 0, v18, v3
	v_add_f16_e32 v18, v26, v38
	v_add_f16_e32 v18, v18, v43
	ds_write_b16 v3, v18
	ds_write_b16 v3, v22 offset:6
	ds_write_b16 v3, v21 offset:12
	v_lshlrev_b32_e32 v18, 1, v31
	v_mul_u32_u24_e32 v19, 18, v28
	v_add3_u32 v26, 0, v19, v18
	v_add_f16_e32 v18, v29, v44
	v_add_f16_e32 v18, v18, v45
	ds_write_b16 v26, v18
	ds_write_b16 v26, v30 offset:6
	ds_write_b16 v26, v25 offset:12
	v_lshlrev_b32_e32 v18, 1, v40
	v_mul_u32_u24_e32 v19, 18, v34
	v_add_f16_e32 v1, v1, v35
	v_add3_u32 v27, 0, v19, v18
	v_add_f16_e32 v1, v1, v53
	ds_write_b16 v27, v1
	ds_write_b16 v27, v33 offset:6
	ds_write_b16 v27, v32 offset:12
	v_lshlrev_b32_e32 v1, 1, v42
	v_mul_u32_u24_e32 v18, 18, v41
	v_add_f16_e32 v0, v0, v54
	v_add3_u32 v1, 0, v18, v1
	v_add_f16_e32 v0, v0, v56
	ds_write_b16 v1, v0
	ds_write_b16 v1, v51 offset:6
	ds_write_b16 v1, v36 offset:12
	s_waitcnt lgkmcnt(0)
	s_barrier
	ds_read_u16 v20, v9
	ds_read_u16 v19, v9 offset:270
	ds_read_u16 v28, v9 offset:1080
	;; [unrolled: 1-line block ×14, first 2 shown]
	s_waitcnt lgkmcnt(0)
	s_barrier
	ds_write_b16 v57, v55
	ds_write_b16 v57, v46 offset:6
	ds_write_b16 v57, v2 offset:12
	v_add_f16_e32 v2, v4, v5
	v_add_f16_e32 v0, v47, v4
	v_fma_f16 v2, v2, -0.5, v47
	v_sub_f16_e32 v4, v38, v43
	v_add_f16_e32 v0, v0, v5
	v_fma_f16 v5, v4, s5, v2
	v_fma_f16 v2, v4, s4, v2
	v_add_f16_e32 v4, v48, v6
	v_add_f16_e32 v6, v6, v7
	v_add_f16_e32 v4, v4, v7
	v_fma_f16 v6, v6, -0.5, v48
	v_sub_f16_e32 v7, v44, v45
	v_fma_f16 v34, v7, s5, v6
	v_fma_f16 v6, v7, s4, v6
	v_add_f16_e32 v7, v49, v52
	v_add_f16_e32 v7, v7, v13
	v_add_f16_e32 v13, v52, v13
	v_fma_f16 v13, v13, -0.5, v49
	v_sub_f16_e32 v35, v35, v53
	;; [unrolled: 7-line block ×3, first 2 shown]
	v_fma_f16 v40, v39, s5, v37
	v_fma_f16 v37, v39, s4, v37
	ds_write_b16 v3, v0
	ds_write_b16 v3, v5 offset:6
	ds_write_b16 v3, v2 offset:12
	ds_write_b16 v26, v4
	ds_write_b16 v26, v34 offset:6
	ds_write_b16 v26, v6 offset:12
	;; [unrolled: 3-line block ×4, first 2 shown]
	v_mov_b32_e32 v0, 57
	v_mul_lo_u16_sdwa v0, v8, v0 dst_sel:DWORD dst_unused:UNUSED_PAD src0_sel:BYTE_0 src1_sel:DWORD
	v_lshrrev_b16_e32 v26, 9, v0
	v_mul_lo_u16_e32 v0, 9, v26
	v_sub_u16_e32 v27, v8, v0
	v_mov_b32_e32 v13, 4
	v_lshlrev_b32_sdwa v0, v13, v27 dst_sel:DWORD dst_unused:UNUSED_PAD src0_sel:DWORD src1_sel:BYTE_0
	s_waitcnt lgkmcnt(0)
	s_barrier
	global_load_dwordx4 v[0:3], v0, s[8:9] offset:24
	v_mul_u32_u24_sdwa v4, v17, s0 dst_sel:DWORD dst_unused:UNUSED_PAD src0_sel:WORD_0 src1_sel:DWORD
	v_lshrrev_b32_e32 v34, 19, v4
	v_mul_lo_u16_e32 v4, 9, v34
	v_sub_u16_e32 v35, v17, v4
	v_lshlrev_b32_e32 v4, 4, v35
	global_load_dwordx4 v[4:7], v4, s[8:9] offset:24
	v_mul_u32_u24_sdwa v37, v14, s0 dst_sel:DWORD dst_unused:UNUSED_PAD src0_sel:WORD_0 src1_sel:DWORD
	v_lshrrev_b32_e32 v37, 19, v37
	v_mul_lo_u16_e32 v38, 9, v37
	v_sub_u16_e32 v38, v14, v38
	v_lshlrev_b32_e32 v39, 4, v38
	global_load_dwordx4 v[39:42], v39, s[8:9] offset:24
	ds_read_u16 v43, v9 offset:810
	ds_read_u16 v44, v9 offset:1080
	;; [unrolled: 1-line block ×5, first 2 shown]
	ds_read_u16 v48, v9
	ds_read_u16 v49, v9 offset:270
	ds_read_u16 v50, v9 offset:540
	s_movk_i32 s0, 0x38b4
	v_mul_u32_u24_e32 v26, 0x5a, v26
	v_lshlrev_b32_sdwa v27, v12, v27 dst_sel:DWORD dst_unused:UNUSED_PAD src0_sel:DWORD src1_sel:BYTE_0
	s_waitcnt vmcnt(2) lgkmcnt(7)
	v_mul_f16_sdwa v51, v43, v0 dst_sel:DWORD dst_unused:UNUSED_PAD src0_sel:DWORD src1_sel:WORD_1
	v_fma_f16 v51, v36, v0, -v51
	v_mul_f16_sdwa v36, v36, v0 dst_sel:DWORD dst_unused:UNUSED_PAD src0_sel:DWORD src1_sel:WORD_1
	v_fma_f16 v0, v43, v0, v36
	s_waitcnt lgkmcnt(4)
	v_mul_f16_sdwa v36, v46, v1 dst_sel:DWORD dst_unused:UNUSED_PAD src0_sel:DWORD src1_sel:WORD_1
	v_fma_f16 v36, v31, v1, -v36
	v_mul_f16_sdwa v31, v31, v1 dst_sel:DWORD dst_unused:UNUSED_PAD src0_sel:DWORD src1_sel:WORD_1
	v_fma_f16 v1, v46, v1, v31
	ds_read_u16 v31, v9 offset:2430
	ds_read_u16 v43, v9 offset:2700
	;; [unrolled: 1-line block ×7, first 2 shown]
	s_waitcnt lgkmcnt(6)
	v_mul_f16_sdwa v56, v31, v2 dst_sel:DWORD dst_unused:UNUSED_PAD src0_sel:DWORD src1_sel:WORD_1
	v_fma_f16 v56, v33, v2, -v56
	v_mul_f16_sdwa v33, v33, v2 dst_sel:DWORD dst_unused:UNUSED_PAD src0_sel:DWORD src1_sel:WORD_1
	v_fma_f16 v2, v31, v2, v33
	s_waitcnt lgkmcnt(2)
	v_mul_f16_sdwa v31, v53, v3 dst_sel:DWORD dst_unused:UNUSED_PAD src0_sel:DWORD src1_sel:WORD_1
	v_fma_f16 v31, v32, v3, -v31
	v_mul_f16_sdwa v32, v32, v3 dst_sel:DWORD dst_unused:UNUSED_PAD src0_sel:DWORD src1_sel:WORD_1
	v_fma_f16 v3, v53, v3, v32
	s_waitcnt vmcnt(1)
	v_mul_f16_sdwa v32, v44, v4 dst_sel:DWORD dst_unused:UNUSED_PAD src0_sel:DWORD src1_sel:WORD_1
	v_fma_f16 v32, v28, v4, -v32
	v_mul_f16_sdwa v28, v28, v4 dst_sel:DWORD dst_unused:UNUSED_PAD src0_sel:DWORD src1_sel:WORD_1
	v_fma_f16 v28, v44, v4, v28
	v_mul_f16_sdwa v4, v45, v5 dst_sel:DWORD dst_unused:UNUSED_PAD src0_sel:DWORD src1_sel:WORD_1
	v_fma_f16 v33, v24, v5, -v4
	v_mul_f16_sdwa v4, v24, v5 dst_sel:DWORD dst_unused:UNUSED_PAD src0_sel:DWORD src1_sel:WORD_1
	v_fma_f16 v5, v45, v5, v4
	;; [unrolled: 4-line block ×4, first 2 shown]
	s_waitcnt vmcnt(0)
	v_mul_f16_sdwa v4, v47, v39 dst_sel:DWORD dst_unused:UNUSED_PAD src0_sel:DWORD src1_sel:WORD_1
	v_fma_f16 v45, v22, v39, -v4
	v_mul_f16_sdwa v4, v22, v39 dst_sel:DWORD dst_unused:UNUSED_PAD src0_sel:DWORD src1_sel:WORD_1
	v_fma_f16 v39, v47, v39, v4
	s_waitcnt lgkmcnt(0)
	v_mul_f16_sdwa v4, v55, v40 dst_sel:DWORD dst_unused:UNUSED_PAD src0_sel:DWORD src1_sel:WORD_1
	v_fma_f16 v46, v30, v40, -v4
	v_mul_f16_sdwa v4, v30, v40 dst_sel:DWORD dst_unused:UNUSED_PAD src0_sel:DWORD src1_sel:WORD_1
	v_fma_f16 v30, v55, v40, v4
	v_mul_f16_sdwa v4, v54, v41 dst_sel:DWORD dst_unused:UNUSED_PAD src0_sel:DWORD src1_sel:WORD_1
	v_fma_f16 v40, v25, v41, -v4
	v_mul_f16_sdwa v4, v25, v41 dst_sel:DWORD dst_unused:UNUSED_PAD src0_sel:DWORD src1_sel:WORD_1
	v_fma_f16 v41, v54, v41, v4
	;; [unrolled: 4-line block ×3, first 2 shown]
	v_sub_f16_e32 v4, v51, v36
	v_sub_f16_e32 v6, v31, v56
	v_add_f16_e32 v4, v4, v6
	v_add_f16_e32 v6, v36, v56
	v_fma_f16 v6, v6, -0.5, v20
	v_sub_f16_e32 v7, v0, v3
	v_fma_f16 v21, v7, s1, v6
	v_sub_f16_e32 v22, v1, v2
	v_fma_f16 v6, v7, s7, v6
	v_fma_f16 v21, v22, s0, v21
	;; [unrolled: 1-line block ×5, first 2 shown]
	v_sub_f16_e32 v6, v36, v51
	v_sub_f16_e32 v23, v56, v31
	v_add_f16_e32 v6, v6, v23
	v_add_f16_e32 v23, v51, v31
	v_fma_f16 v23, v23, -0.5, v20
	v_fma_f16 v25, v22, s7, v23
	v_fma_f16 v22, v22, s1, v23
	;; [unrolled: 1-line block ×6, first 2 shown]
	v_add_f16_e32 v7, v20, v51
	v_add_f16_e32 v7, v7, v36
	;; [unrolled: 1-line block ×4, first 2 shown]
	v_sub_f16_e32 v20, v51, v31
	v_sub_f16_e32 v25, v0, v1
	;; [unrolled: 1-line block ×3, first 2 shown]
	v_add_f16_e32 v25, v25, v31
	v_add_f16_e32 v31, v1, v2
	v_fma_f16 v31, v31, -0.5, v48
	v_sub_f16_e32 v23, v36, v56
	v_fma_f16 v36, v20, s7, v31
	v_fma_f16 v31, v20, s1, v31
	;; [unrolled: 1-line block ×6, first 2 shown]
	v_add_f16_e32 v25, v0, v3
	v_fma_f16 v25, v25, -0.5, v48
	v_add_f16_e32 v48, v48, v0
	v_add_f16_e32 v48, v48, v1
	v_sub_f16_e32 v0, v1, v0
	v_add_f16_e32 v1, v48, v2
	v_add_f16_e32 v48, v1, v3
	v_sub_f16_e32 v1, v2, v3
	v_add_f16_e32 v0, v0, v1
	v_fma_f16 v1, v23, s1, v25
	v_fma_f16 v2, v23, s7, v25
	;; [unrolled: 1-line block ×6, first 2 shown]
	v_sub_f16_e32 v0, v32, v33
	v_sub_f16_e32 v1, v44, v24
	v_add_f16_e32 v0, v0, v1
	v_add_f16_e32 v1, v33, v24
	v_fma_f16 v1, v1, -0.5, v19
	v_sub_f16_e32 v2, v28, v29
	v_fma_f16 v20, v2, s1, v1
	v_sub_f16_e32 v23, v5, v43
	v_fma_f16 v1, v2, s7, v1
	v_fma_f16 v20, v23, s0, v20
	;; [unrolled: 1-line block ×5, first 2 shown]
	v_sub_f16_e32 v1, v33, v32
	v_sub_f16_e32 v25, v24, v44
	v_add_f16_e32 v1, v1, v25
	v_add_f16_e32 v25, v32, v44
	v_fma_f16 v25, v25, -0.5, v19
	v_fma_f16 v52, v23, s7, v25
	v_fma_f16 v23, v23, s1, v25
	v_fma_f16 v25, v2, s0, v52
	v_fma_f16 v2, v2, s10, v23
	v_fma_f16 v23, v1, s6, v25
	v_fma_f16 v1, v1, s6, v2
	v_sub_f16_e32 v2, v45, v46
	v_sub_f16_e32 v25, v47, v40
	v_add_f16_e32 v2, v2, v25
	v_add_f16_e32 v25, v46, v40
	v_fma_f16 v25, v25, -0.5, v18
	v_sub_f16_e32 v52, v39, v42
	v_fma_f16 v53, v52, s1, v25
	v_sub_f16_e32 v54, v30, v41
	v_fma_f16 v25, v52, s7, v25
	v_fma_f16 v53, v54, s0, v53
	;; [unrolled: 1-line block ×5, first 2 shown]
	v_sub_f16_e32 v25, v46, v45
	v_sub_f16_e32 v55, v40, v47
	v_add_f16_e32 v25, v25, v55
	v_add_f16_e32 v55, v45, v47
	v_fma_f16 v55, v55, -0.5, v18
	v_fma_f16 v56, v54, s7, v55
	v_fma_f16 v54, v54, s1, v55
	;; [unrolled: 1-line block ×6, first 2 shown]
	v_add3_u32 v52, 0, v26, v27
	s_barrier
	ds_write_b16 v52, v7
	ds_write_b16 v52, v21 offset:18
	ds_write_b16 v52, v22 offset:36
	;; [unrolled: 1-line block ×4, first 2 shown]
	v_mul_u32_u24_e32 v4, 0x5a, v34
	v_lshlrev_b32_e32 v6, 1, v35
	v_add3_u32 v34, 0, v4, v6
	v_add_f16_e32 v4, v19, v32
	v_add_f16_e32 v4, v4, v33
	;; [unrolled: 1-line block ×4, first 2 shown]
	ds_write_b16 v34, v4
	ds_write_b16 v34, v20 offset:18
	ds_write_b16 v34, v23 offset:36
	ds_write_b16 v34, v1 offset:54
	ds_write_b16 v34, v0 offset:72
	v_mul_u32_u24_e32 v0, 0x5a, v37
	v_lshlrev_b32_e32 v1, 1, v38
	v_add3_u32 v35, 0, v0, v1
	v_add_f16_e32 v0, v18, v45
	v_add_f16_e32 v0, v0, v46
	;; [unrolled: 1-line block ×4, first 2 shown]
	ds_write_b16 v35, v0
	ds_write_b16 v35, v53 offset:18
	ds_write_b16 v35, v54 offset:36
	;; [unrolled: 1-line block ×4, first 2 shown]
	s_waitcnt lgkmcnt(0)
	s_barrier
	ds_read_u16 v2, v9
	ds_read_u16 v1, v9 offset:270
	ds_read_u16 v20, v9 offset:1080
	;; [unrolled: 1-line block ×14, first 2 shown]
	s_waitcnt lgkmcnt(0)
	s_barrier
	ds_write_b16 v52, v48
	ds_write_b16 v52, v36 offset:18
	ds_write_b16 v52, v3 offset:36
	;; [unrolled: 1-line block ×4, first 2 shown]
	v_sub_f16_e32 v3, v32, v44
	v_sub_f16_e32 v31, v28, v5
	;; [unrolled: 1-line block ×3, first 2 shown]
	v_add_f16_e32 v31, v31, v32
	v_add_f16_e32 v32, v5, v43
	v_fma_f16 v32, v32, -0.5, v49
	v_sub_f16_e32 v24, v33, v24
	v_fma_f16 v33, v3, s7, v32
	v_fma_f16 v32, v3, s1, v32
	v_add_f16_e32 v36, v49, v28
	v_fma_f16 v33, v24, s10, v33
	v_fma_f16 v32, v24, s0, v32
	v_add_f16_e32 v36, v36, v5
	v_fma_f16 v33, v31, s6, v33
	v_fma_f16 v31, v31, s6, v32
	v_add_f16_e32 v32, v28, v29
	v_sub_f16_e32 v5, v5, v28
	v_add_f16_e32 v28, v36, v43
	v_fma_f16 v32, v32, -0.5, v49
	v_add_f16_e32 v28, v28, v29
	v_sub_f16_e32 v29, v43, v29
	v_add_f16_e32 v5, v5, v29
	v_fma_f16 v29, v24, s1, v32
	v_fma_f16 v24, v24, s7, v32
	v_sub_f16_e32 v32, v39, v30
	v_sub_f16_e32 v36, v42, v41
	v_fma_f16 v29, v3, s10, v29
	v_fma_f16 v3, v3, s0, v24
	v_add_f16_e32 v32, v32, v36
	v_add_f16_e32 v36, v30, v41
	v_fma_f16 v24, v5, s6, v29
	v_fma_f16 v3, v5, s6, v3
	v_sub_f16_e32 v5, v45, v47
	v_fma_f16 v36, v36, -0.5, v50
	v_sub_f16_e32 v29, v46, v40
	v_fma_f16 v37, v5, s7, v36
	v_fma_f16 v36, v5, s1, v36
	;; [unrolled: 1-line block ×6, first 2 shown]
	v_add_f16_e32 v36, v39, v42
	v_add_f16_e32 v38, v50, v39
	v_fma_f16 v36, v36, -0.5, v50
	v_add_f16_e32 v38, v38, v30
	v_sub_f16_e32 v30, v30, v39
	v_sub_f16_e32 v39, v41, v42
	v_add_f16_e32 v30, v30, v39
	v_fma_f16 v39, v29, s1, v36
	v_fma_f16 v29, v29, s7, v36
	v_add_f16_e32 v38, v38, v41
	v_fma_f16 v36, v5, s10, v39
	v_fma_f16 v5, v5, s0, v29
	;; [unrolled: 3-line block ×3, first 2 shown]
	ds_write_b16 v34, v28
	ds_write_b16 v34, v33 offset:18
	ds_write_b16 v34, v24 offset:36
	ds_write_b16 v34, v3 offset:54
	ds_write_b16 v34, v31 offset:72
	ds_write_b16 v35, v38
	ds_write_b16 v35, v37 offset:18
	ds_write_b16 v35, v29 offset:36
	;; [unrolled: 1-line block ×4, first 2 shown]
	v_mul_lo_u16_sdwa v3, v8, s11 dst_sel:DWORD dst_unused:UNUSED_PAD src0_sel:BYTE_0 src1_sel:DWORD
	v_sub_u16_sdwa v5, v8, v3 dst_sel:DWORD dst_unused:UNUSED_PAD src0_sel:DWORD src1_sel:BYTE_1
	v_lshrrev_b16_e32 v5, 1, v5
	v_and_b32_e32 v5, 0x7f, v5
	v_add_u16_sdwa v3, v5, v3 dst_sel:DWORD dst_unused:UNUSED_PAD src0_sel:DWORD src1_sel:BYTE_1
	v_lshrrev_b16_e32 v3, 5, v3
	v_mul_lo_u16_e32 v5, 45, v3
	v_sub_u16_e32 v5, v8, v5
	s_movk_i32 s11, 0x2d83
	v_lshlrev_b32_sdwa v13, v13, v5 dst_sel:DWORD dst_unused:UNUSED_PAD src0_sel:DWORD src1_sel:BYTE_0
	v_mul_u32_u24_sdwa v36, v14, s11 dst_sel:DWORD dst_unused:UNUSED_PAD src0_sel:WORD_0 src1_sel:DWORD
	s_waitcnt lgkmcnt(0)
	s_barrier
	global_load_dwordx4 v[28:31], v13, s[8:9] offset:168
	v_lshrrev_b32_e32 v40, 19, v36
	v_mul_lo_u16_e32 v36, 45, v40
	v_sub_u16_e32 v41, v14, v36
	v_lshlrev_b32_e32 v36, 4, v41
	global_load_dwordx4 v[36:39], v36, s[8:9] offset:168
	v_mul_u32_u24_sdwa v13, v17, s11 dst_sel:DWORD dst_unused:UNUSED_PAD src0_sel:WORD_0 src1_sel:DWORD
	v_lshrrev_b32_e32 v13, 19, v13
	v_mul_lo_u16_e32 v24, 45, v13
	v_sub_u16_e32 v24, v17, v24
	v_lshlrev_b32_e32 v32, 4, v24
	global_load_dwordx4 v[32:35], v32, s[8:9] offset:168
	ds_read_u16 v42, v9 offset:810
	ds_read_u16 v43, v9 offset:1080
	;; [unrolled: 1-line block ×5, first 2 shown]
	ds_read_u16 v47, v9
	ds_read_u16 v48, v9 offset:270
	ds_read_u16 v49, v9 offset:540
	v_lshlrev_b32_sdwa v5, v12, v5 dst_sel:DWORD dst_unused:UNUSED_PAD src0_sel:DWORD src1_sel:BYTE_0
	v_mul_u32_u24_e32 v3, 0x1c2, v3
	v_add3_u32 v3, 0, v3, v5
	v_lshlrev_b32_e32 v5, 1, v24
	s_waitcnt vmcnt(2) lgkmcnt(7)
	v_mul_f16_sdwa v50, v42, v28 dst_sel:DWORD dst_unused:UNUSED_PAD src0_sel:DWORD src1_sel:WORD_1
	v_fma_f16 v50, v27, v28, -v50
	v_mul_f16_sdwa v27, v27, v28 dst_sel:DWORD dst_unused:UNUSED_PAD src0_sel:DWORD src1_sel:WORD_1
	v_fma_f16 v27, v42, v28, v27
	s_waitcnt lgkmcnt(4)
	v_mul_f16_sdwa v28, v45, v29 dst_sel:DWORD dst_unused:UNUSED_PAD src0_sel:DWORD src1_sel:WORD_1
	v_fma_f16 v28, v23, v29, -v28
	v_mul_f16_sdwa v23, v23, v29 dst_sel:DWORD dst_unused:UNUSED_PAD src0_sel:DWORD src1_sel:WORD_1
	v_fma_f16 v23, v45, v29, v23
	ds_read_u16 v29, v9 offset:2430
	ds_read_u16 v42, v9 offset:2700
	;; [unrolled: 1-line block ×7, first 2 shown]
	s_waitcnt lgkmcnt(6)
	v_mul_f16_sdwa v55, v29, v30 dst_sel:DWORD dst_unused:UNUSED_PAD src0_sel:DWORD src1_sel:WORD_1
	v_fma_f16 v55, v26, v30, -v55
	v_mul_f16_sdwa v26, v26, v30 dst_sel:DWORD dst_unused:UNUSED_PAD src0_sel:DWORD src1_sel:WORD_1
	v_fma_f16 v26, v29, v30, v26
	s_waitcnt lgkmcnt(2)
	v_mul_f16_sdwa v29, v52, v31 dst_sel:DWORD dst_unused:UNUSED_PAD src0_sel:DWORD src1_sel:WORD_1
	v_fma_f16 v29, v25, v31, -v29
	v_mul_f16_sdwa v25, v25, v31 dst_sel:DWORD dst_unused:UNUSED_PAD src0_sel:DWORD src1_sel:WORD_1
	v_fma_f16 v25, v52, v31, v25
	s_waitcnt vmcnt(0)
	v_mul_f16_sdwa v30, v43, v32 dst_sel:DWORD dst_unused:UNUSED_PAD src0_sel:DWORD src1_sel:WORD_1
	v_mul_f16_sdwa v31, v44, v33 dst_sel:DWORD dst_unused:UNUSED_PAD src0_sel:DWORD src1_sel:WORD_1
	v_fma_f16 v30, v20, v32, -v30
	v_mul_f16_sdwa v20, v20, v32 dst_sel:DWORD dst_unused:UNUSED_PAD src0_sel:DWORD src1_sel:WORD_1
	v_fma_f16 v31, v18, v33, -v31
	v_mul_f16_sdwa v18, v18, v33 dst_sel:DWORD dst_unused:UNUSED_PAD src0_sel:DWORD src1_sel:WORD_1
	v_fma_f16 v20, v43, v32, v20
	v_fma_f16 v18, v44, v33, v18
	v_mul_f16_sdwa v32, v42, v34 dst_sel:DWORD dst_unused:UNUSED_PAD src0_sel:DWORD src1_sel:WORD_1
	v_mul_f16_sdwa v33, v45, v35 dst_sel:DWORD dst_unused:UNUSED_PAD src0_sel:DWORD src1_sel:WORD_1
	v_fma_f16 v32, v7, v34, -v32
	v_mul_f16_sdwa v7, v7, v34 dst_sel:DWORD dst_unused:UNUSED_PAD src0_sel:DWORD src1_sel:WORD_1
	v_fma_f16 v33, v21, v35, -v33
	v_mul_f16_sdwa v21, v21, v35 dst_sel:DWORD dst_unused:UNUSED_PAD src0_sel:DWORD src1_sel:WORD_1
	v_fma_f16 v7, v42, v34, v7
	v_fma_f16 v21, v45, v35, v21
	v_mul_f16_sdwa v34, v46, v36 dst_sel:DWORD dst_unused:UNUSED_PAD src0_sel:DWORD src1_sel:WORD_1
	s_waitcnt lgkmcnt(0)
	v_mul_f16_sdwa v35, v54, v37 dst_sel:DWORD dst_unused:UNUSED_PAD src0_sel:DWORD src1_sel:WORD_1
	v_fma_f16 v34, v6, v36, -v34
	v_mul_f16_sdwa v6, v6, v36 dst_sel:DWORD dst_unused:UNUSED_PAD src0_sel:DWORD src1_sel:WORD_1
	v_fma_f16 v35, v22, v37, -v35
	v_mul_f16_sdwa v22, v22, v37 dst_sel:DWORD dst_unused:UNUSED_PAD src0_sel:DWORD src1_sel:WORD_1
	v_fma_f16 v6, v46, v36, v6
	v_fma_f16 v22, v54, v37, v22
	v_mul_f16_sdwa v36, v53, v38 dst_sel:DWORD dst_unused:UNUSED_PAD src0_sel:DWORD src1_sel:WORD_1
	v_mul_f16_sdwa v37, v51, v39 dst_sel:DWORD dst_unused:UNUSED_PAD src0_sel:DWORD src1_sel:WORD_1
	v_fma_f16 v36, v19, v38, -v36
	v_mul_f16_sdwa v19, v19, v38 dst_sel:DWORD dst_unused:UNUSED_PAD src0_sel:DWORD src1_sel:WORD_1
	v_fma_f16 v37, v4, v39, -v37
	v_mul_f16_sdwa v4, v4, v39 dst_sel:DWORD dst_unused:UNUSED_PAD src0_sel:DWORD src1_sel:WORD_1
	v_fma_f16 v19, v53, v38, v19
	v_fma_f16 v4, v51, v39, v4
	v_sub_f16_e32 v38, v50, v28
	v_sub_f16_e32 v39, v29, v55
	v_add_f16_e32 v38, v38, v39
	v_add_f16_e32 v39, v28, v55
	v_fma_f16 v39, v39, -0.5, v2
	v_sub_f16_e32 v42, v27, v25
	v_fma_f16 v43, v42, s1, v39
	v_sub_f16_e32 v44, v23, v26
	v_fma_f16 v39, v42, s7, v39
	v_fma_f16 v43, v44, s0, v43
	;; [unrolled: 1-line block ×5, first 2 shown]
	v_sub_f16_e32 v39, v28, v50
	v_sub_f16_e32 v45, v55, v29
	v_add_f16_e32 v39, v39, v45
	v_add_f16_e32 v45, v50, v29
	v_fma_f16 v45, v45, -0.5, v2
	v_fma_f16 v46, v44, s7, v45
	v_fma_f16 v44, v44, s1, v45
	;; [unrolled: 1-line block ×4, first 2 shown]
	v_add_f16_e32 v2, v2, v50
	v_fma_f16 v44, v39, s6, v45
	v_fma_f16 v39, v39, s6, v42
	v_add_f16_e32 v2, v2, v28
	v_sub_f16_e32 v42, v27, v23
	v_sub_f16_e32 v45, v25, v26
	v_add_f16_e32 v2, v2, v55
	v_add_f16_e32 v42, v42, v45
	;; [unrolled: 1-line block ×4, first 2 shown]
	v_sub_f16_e32 v29, v50, v29
	v_fma_f16 v45, v45, -0.5, v47
	v_sub_f16_e32 v28, v28, v55
	v_fma_f16 v46, v29, s7, v45
	v_fma_f16 v45, v29, s1, v45
	;; [unrolled: 1-line block ×6, first 2 shown]
	v_add_f16_e32 v45, v27, v25
	v_fma_f16 v45, v45, -0.5, v47
	v_add_f16_e32 v47, v47, v27
	v_add_f16_e32 v47, v47, v23
	v_sub_f16_e32 v23, v23, v27
	v_add_f16_e32 v27, v47, v26
	v_add_f16_e32 v47, v27, v25
	v_sub_f16_e32 v25, v26, v25
	v_add_f16_e32 v23, v23, v25
	v_fma_f16 v25, v28, s1, v45
	v_fma_f16 v26, v28, s7, v45
	v_fma_f16 v25, v29, s10, v25
	v_fma_f16 v26, v29, s0, v26
	v_fma_f16 v45, v23, s6, v25
	v_fma_f16 v50, v23, s6, v26
	v_sub_f16_e32 v23, v30, v31
	v_sub_f16_e32 v25, v33, v32
	v_add_f16_e32 v23, v23, v25
	v_add_f16_e32 v25, v31, v32
	v_fma_f16 v25, v25, -0.5, v1
	v_sub_f16_e32 v26, v20, v21
	v_fma_f16 v27, v26, s1, v25
	v_sub_f16_e32 v28, v18, v7
	v_fma_f16 v25, v26, s7, v25
	v_fma_f16 v27, v28, s0, v27
	;; [unrolled: 1-line block ×5, first 2 shown]
	v_sub_f16_e32 v25, v31, v30
	v_sub_f16_e32 v29, v32, v33
	v_add_f16_e32 v25, v25, v29
	v_add_f16_e32 v29, v30, v33
	v_fma_f16 v29, v29, -0.5, v1
	v_fma_f16 v51, v28, s7, v29
	v_fma_f16 v28, v28, s1, v29
	;; [unrolled: 1-line block ×4, first 2 shown]
	v_add_f16_e32 v1, v1, v30
	v_fma_f16 v28, v25, s6, v29
	v_fma_f16 v25, v25, s6, v26
	v_add_f16_e32 v1, v1, v31
	v_sub_f16_e32 v26, v30, v33
	v_sub_f16_e32 v29, v31, v32
	;; [unrolled: 1-line block ×4, first 2 shown]
	v_add_f16_e32 v30, v30, v31
	v_add_f16_e32 v31, v18, v7
	v_fma_f16 v31, v31, -0.5, v48
	v_add_f16_e32 v1, v1, v32
	v_fma_f16 v32, v26, s7, v31
	v_fma_f16 v31, v26, s1, v31
	;; [unrolled: 1-line block ×5, first 2 shown]
	v_add_f16_e32 v31, v48, v20
	v_add_f16_e32 v1, v1, v33
	v_fma_f16 v33, v30, s6, v32
	v_add_f16_e32 v30, v20, v21
	v_add_f16_e32 v31, v31, v18
	v_fma_f16 v30, v30, -0.5, v48
	v_sub_f16_e32 v18, v18, v20
	v_add_f16_e32 v20, v31, v7
	v_sub_f16_e32 v7, v7, v21
	v_add_f16_e32 v48, v20, v21
	v_add_f16_e32 v7, v18, v7
	v_fma_f16 v18, v29, s1, v30
	v_fma_f16 v20, v29, s7, v30
	;; [unrolled: 1-line block ×6, first 2 shown]
	v_sub_f16_e32 v18, v34, v35
	v_sub_f16_e32 v20, v37, v36
	v_add_f16_e32 v18, v18, v20
	v_add_f16_e32 v20, v35, v36
	v_fma_f16 v20, v20, -0.5, v0
	v_sub_f16_e32 v21, v6, v4
	v_fma_f16 v26, v21, s1, v20
	v_sub_f16_e32 v29, v22, v19
	v_fma_f16 v20, v21, s7, v20
	v_fma_f16 v26, v29, s0, v26
	;; [unrolled: 1-line block ×5, first 2 shown]
	v_sub_f16_e32 v20, v35, v34
	v_sub_f16_e32 v30, v36, v37
	v_add_f16_e32 v20, v20, v30
	v_add_f16_e32 v30, v34, v37
	v_fma_f16 v30, v30, -0.5, v0
	v_fma_f16 v31, v29, s7, v30
	v_fma_f16 v29, v29, s1, v30
	;; [unrolled: 1-line block ×3, first 2 shown]
	v_sub_f16_e32 v31, v6, v22
	v_sub_f16_e32 v32, v4, v19
	v_fma_f16 v21, v21, s10, v29
	v_add_f16_e32 v31, v31, v32
	v_add_f16_e32 v32, v22, v19
	v_fma_f16 v29, v20, s6, v30
	v_fma_f16 v20, v20, s6, v21
	v_sub_f16_e32 v21, v34, v37
	v_fma_f16 v32, v32, -0.5, v49
	v_add_f16_e32 v0, v0, v34
	v_sub_f16_e32 v30, v35, v36
	v_fma_f16 v34, v21, s7, v32
	v_fma_f16 v32, v21, s1, v32
	;; [unrolled: 1-line block ×3, first 2 shown]
	v_add_f16_e32 v0, v0, v35
	v_fma_f16 v35, v31, s6, v32
	v_add_f16_e32 v32, v49, v6
	v_fma_f16 v34, v30, s10, v34
	;; [unrolled: 2-line block ×3, first 2 shown]
	v_add_f16_e32 v31, v6, v4
	v_sub_f16_e32 v6, v22, v6
	v_add_f16_e32 v22, v32, v19
	s_barrier
	ds_write_b16 v3, v2
	ds_write_b16 v3, v43 offset:90
	ds_write_b16 v3, v44 offset:180
	;; [unrolled: 1-line block ×4, first 2 shown]
	v_mul_u32_u24_e32 v2, 0x1c2, v13
	v_add_f16_e32 v0, v0, v36
	v_fma_f16 v31, v31, -0.5, v49
	v_add_f16_e32 v36, v22, v4
	v_sub_f16_e32 v4, v19, v4
	v_add3_u32 v2, 0, v2, v5
	v_add_f16_e32 v4, v6, v4
	v_fma_f16 v6, v30, s1, v31
	v_fma_f16 v19, v30, s7, v31
	ds_write_b16 v2, v1
	ds_write_b16 v2, v27 offset:90
	ds_write_b16 v2, v28 offset:180
	;; [unrolled: 1-line block ×4, first 2 shown]
	v_mul_u32_u24_e32 v1, 0x1c2, v40
	v_lshlrev_b32_e32 v5, 1, v41
	v_add_f16_e32 v0, v0, v37
	v_fma_f16 v6, v21, s10, v6
	v_fma_f16 v19, v21, s0, v19
	v_add3_u32 v1, 0, v1, v5
	v_fma_f16 v6, v4, s6, v6
	v_fma_f16 v4, v4, s6, v19
	ds_write_b16 v1, v0
	ds_write_b16 v1, v26 offset:90
	ds_write_b16 v1, v29 offset:180
	;; [unrolled: 1-line block ×4, first 2 shown]
	s_waitcnt lgkmcnt(0)
	s_barrier
	ds_read_u16 v28, v9 offset:1620
	ds_read_u16 v25, v9 offset:1890
	ds_read_u16 v22, v9
	ds_read_u16 v21, v9 offset:270
	ds_read_u16 v20, v9 offset:540
	;; [unrolled: 1-line block ×12, first 2 shown]
	s_waitcnt lgkmcnt(0)
	s_barrier
	ds_write_b16 v3, v47
	ds_write_b16 v3, v46 offset:90
	ds_write_b16 v3, v45 offset:180
	ds_write_b16 v3, v50 offset:270
	ds_write_b16 v3, v42 offset:360
	ds_write_b16 v2, v48
	ds_write_b16 v2, v33 offset:90
	ds_write_b16 v2, v52 offset:180
	ds_write_b16 v2, v7 offset:270
	ds_write_b16 v2, v51 offset:360
	;; [unrolled: 5-line block ×3, first 2 shown]
	v_lshlrev_b32_e32 v0, 1, v8
	v_mov_b32_e32 v1, 0
	v_lshlrev_b64 v[2:3], 2, v[0:1]
	v_mov_b32_e32 v35, s9
	v_add_co_u32_e64 v2, s[0:1], s8, v2
	v_addc_co_u32_e64 v3, s[0:1], v35, v3, s[0:1]
	s_movk_i32 s0, 0x5a
	v_add_u32_e32 v4, 0xffffffa6, v8
	v_cmp_gt_u32_e64 s[0:1], s0, v8
	v_cndmask_b32_e64 v4, v4, v17, s[0:1]
	v_lshlrev_b32_e32 v4, 1, v4
	v_mov_b32_e32 v5, v1
	s_waitcnt lgkmcnt(0)
	s_barrier
	global_load_dwordx2 v[6:7], v[2:3], off offset:888
	v_lshlrev_b64 v[12:13], 2, v[4:5]
	v_add_u32_e32 v33, 0x5a, v0
	v_mov_b32_e32 v34, v1
	v_add_co_u32_e64 v12, s[0:1], s8, v12
	v_lshlrev_b64 v[33:34], 2, v[33:34]
	v_addc_co_u32_e64 v13, s[0:1], v35, v13, s[0:1]
	global_load_dwordx2 v[12:13], v[12:13], off offset:888
	v_add_co_u32_e64 v33, s[0:1], s8, v33
	v_addc_co_u32_e64 v34, s[0:1], v35, v34, s[0:1]
	s_mov_b32 s0, 0x91a3
	v_mul_u32_u24_sdwa v5, v15, s0 dst_sel:DWORD dst_unused:UNUSED_PAD src0_sel:WORD_0 src1_sel:DWORD
	global_load_dwordx2 v[33:34], v[33:34], off offset:888
	v_lshrrev_b32_e32 v5, 23, v5
	v_mul_lo_u16_e32 v35, 0xe1, v5
	v_sub_u16_e32 v39, v15, v35
	v_lshlrev_b32_e32 v35, 3, v39
	v_mul_u32_u24_sdwa v37, v16, s0 dst_sel:DWORD dst_unused:UNUSED_PAD src0_sel:WORD_0 src1_sel:DWORD
	global_load_dwordx2 v[35:36], v35, s[8:9] offset:888
	v_lshrrev_b32_e32 v37, 23, v37
	v_mul_lo_u16_e32 v37, 0xe1, v37
	v_sub_u16_e32 v40, v16, v37
	v_lshlrev_b32_e32 v37, 3, v40
	global_load_dwordx2 v[37:38], v37, s[8:9] offset:888
	ds_read_u16 v41, v9 offset:1350
	ds_read_u16 v42, v9 offset:1620
	;; [unrolled: 1-line block ×3, first 2 shown]
	ds_read_u16 v44, v9
	ds_read_u16 v45, v9 offset:270
	ds_read_u16 v46, v9 offset:540
	;; [unrolled: 1-line block ×4, first 2 shown]
	s_movk_i32 s0, 0x59
	v_cmp_lt_u32_e64 s[0:1], s0, v8
	v_add_u32_e32 v0, 0, v0
	v_mul_u32_u24_e32 v5, 0x546, v5
	v_lshl_add_u32 v40, v40, 1, 0
	s_waitcnt vmcnt(4) lgkmcnt(7)
	v_mul_f16_sdwa v49, v41, v6 dst_sel:DWORD dst_unused:UNUSED_PAD src0_sel:DWORD src1_sel:WORD_1
	v_fma_f16 v49, v32, v6, -v49
	v_mul_f16_sdwa v32, v32, v6 dst_sel:DWORD dst_unused:UNUSED_PAD src0_sel:DWORD src1_sel:WORD_1
	v_fma_f16 v6, v41, v6, v32
	ds_read_u16 v32, v9 offset:2160
	ds_read_u16 v41, v9 offset:2700
	;; [unrolled: 1-line block ×7, first 2 shown]
	s_waitcnt lgkmcnt(5)
	v_mul_f16_sdwa v55, v41, v7 dst_sel:DWORD dst_unused:UNUSED_PAD src0_sel:DWORD src1_sel:WORD_1
	v_fma_f16 v55, v31, v7, -v55
	v_mul_f16_sdwa v31, v31, v7 dst_sel:DWORD dst_unused:UNUSED_PAD src0_sel:DWORD src1_sel:WORD_1
	v_fma_f16 v7, v41, v7, v31
	s_waitcnt vmcnt(3)
	v_mul_f16_sdwa v31, v42, v12 dst_sel:DWORD dst_unused:UNUSED_PAD src0_sel:DWORD src1_sel:WORD_1
	v_fma_f16 v31, v28, v12, -v31
	v_mul_f16_sdwa v28, v28, v12 dst_sel:DWORD dst_unused:UNUSED_PAD src0_sel:DWORD src1_sel:WORD_1
	v_fma_f16 v12, v42, v12, v28
	s_waitcnt lgkmcnt(4)
	v_mul_f16_sdwa v28, v50, v13 dst_sel:DWORD dst_unused:UNUSED_PAD src0_sel:DWORD src1_sel:WORD_1
	v_fma_f16 v28, v30, v13, -v28
	v_mul_f16_sdwa v30, v30, v13 dst_sel:DWORD dst_unused:UNUSED_PAD src0_sel:DWORD src1_sel:WORD_1
	v_fma_f16 v13, v50, v13, v30
	s_waitcnt vmcnt(2)
	v_mul_f16_sdwa v30, v43, v33 dst_sel:DWORD dst_unused:UNUSED_PAD src0_sel:DWORD src1_sel:WORD_1
	v_fma_f16 v30, v25, v33, -v30
	v_mul_f16_sdwa v25, v25, v33 dst_sel:DWORD dst_unused:UNUSED_PAD src0_sel:DWORD src1_sel:WORD_1
	v_fma_f16 v33, v43, v33, v25
	;; [unrolled: 10-line block ×3, first 2 shown]
	s_waitcnt lgkmcnt(2)
	v_mul_f16_sdwa v24, v52, v36 dst_sel:DWORD dst_unused:UNUSED_PAD src0_sel:DWORD src1_sel:WORD_1
	v_fma_f16 v35, v26, v36, -v24
	v_mul_f16_sdwa v24, v26, v36 dst_sel:DWORD dst_unused:UNUSED_PAD src0_sel:DWORD src1_sel:WORD_1
	v_fma_f16 v36, v52, v36, v24
	s_waitcnt vmcnt(0) lgkmcnt(0)
	v_mul_f16_sdwa v24, v54, v37 dst_sel:DWORD dst_unused:UNUSED_PAD src0_sel:DWORD src1_sel:WORD_1
	v_fma_f16 v42, v27, v37, -v24
	v_mul_f16_sdwa v24, v27, v37 dst_sel:DWORD dst_unused:UNUSED_PAD src0_sel:DWORD src1_sel:WORD_1
	v_fma_f16 v27, v54, v37, v24
	v_mul_f16_sdwa v24, v53, v38 dst_sel:DWORD dst_unused:UNUSED_PAD src0_sel:DWORD src1_sel:WORD_1
	v_fma_f16 v37, v23, v38, -v24
	v_mul_f16_sdwa v23, v23, v38 dst_sel:DWORD dst_unused:UNUSED_PAD src0_sel:DWORD src1_sel:WORD_1
	v_fma_f16 v38, v53, v38, v23
	v_mov_b32_e32 v23, 0x546
	v_cndmask_b32_e64 v23, 0, v23, s[0:1]
	v_add3_u32 v43, 0, v23, v4
	v_add_f16_e32 v4, v49, v55
	v_fma_f16 v4, v4, -0.5, v22
	v_sub_f16_e32 v23, v6, v7
	v_fma_f16 v24, v23, s4, v4
	v_fma_f16 v4, v23, s5, v4
	v_add_f16_e32 v23, v44, v6
	v_add_f16_e32 v6, v6, v7
	v_add_f16_e32 v50, v23, v7
	v_fma_f16 v6, v6, -0.5, v44
	v_add_f16_e32 v7, v22, v49
	v_sub_f16_e32 v22, v49, v55
	v_fma_f16 v44, v22, s5, v6
	v_fma_f16 v49, v22, s4, v6
	v_add_f16_e32 v6, v31, v28
	v_fma_f16 v6, v6, -0.5, v21
	v_sub_f16_e32 v22, v12, v13
	v_fma_f16 v23, v22, s4, v6
	v_fma_f16 v6, v22, s5, v6
	v_add_f16_e32 v22, v45, v12
	v_add_f16_e32 v12, v12, v13
	;; [unrolled: 1-line block ×4, first 2 shown]
	v_fma_f16 v12, v12, -0.5, v45
	v_add_f16_e32 v13, v21, v31
	v_sub_f16_e32 v21, v31, v28
	v_add_f16_e32 v13, v13, v28
	v_fma_f16 v28, v21, s5, v12
	v_fma_f16 v31, v21, s4, v12
	v_add_f16_e32 v12, v30, v41
	s_barrier
	ds_write_b16 v9, v7
	ds_write_b16 v9, v24 offset:450
	ds_write_b16 v9, v4 offset:900
	ds_write_b16 v43, v13
	ds_write_b16 v43, v23 offset:450
	ds_write_b16 v43, v6 offset:900
	v_add_f16_e32 v4, v20, v30
	v_fma_f16 v12, v12, -0.5, v20
	v_sub_f16_e32 v21, v33, v29
	v_add_f16_e32 v4, v4, v41
	v_fma_f16 v22, v21, s4, v12
	v_fma_f16 v12, v21, s5, v12
	v_add_f16_e32 v21, v34, v35
	ds_write_b16 v0, v4 offset:1440
	ds_write_b16 v0, v22 offset:1890
	;; [unrolled: 1-line block ×3, first 2 shown]
	v_lshlrev_b32_e32 v4, 1, v39
	v_fma_f16 v21, v21, -0.5, v19
	v_sub_f16_e32 v25, v32, v36
	v_add3_u32 v39, 0, v5, v4
	v_add_f16_e32 v4, v19, v34
	v_fma_f16 v26, v25, s4, v21
	v_fma_f16 v21, v25, s5, v21
	v_add_f16_e32 v25, v42, v37
	v_add_f16_e32 v4, v4, v35
	v_fma_f16 v25, v25, -0.5, v18
	v_sub_f16_e32 v45, v27, v38
	ds_write_b16 v39, v4
	ds_write_b16 v39, v26 offset:450
	ds_write_b16 v39, v21 offset:900
	v_add_f16_e32 v4, v18, v42
	v_fma_f16 v52, v45, s4, v25
	v_fma_f16 v25, v45, s5, v25
	v_add_f16_e32 v4, v4, v37
	ds_write_b16 v40, v4 offset:2700
	ds_write_b16 v40, v52 offset:3150
	;; [unrolled: 1-line block ×3, first 2 shown]
	s_waitcnt lgkmcnt(0)
	s_barrier
	ds_read_u16 v7, v9 offset:1620
	ds_read_u16 v19, v9 offset:1890
	ds_read_u16 v4, v9
	ds_read_u16 v5, v9 offset:270
	ds_read_u16 v13, v9 offset:540
	;; [unrolled: 1-line block ×12, first 2 shown]
	s_waitcnt lgkmcnt(0)
	s_barrier
	ds_write_b16 v9, v50
	ds_write_b16 v9, v44 offset:450
	ds_write_b16 v9, v49 offset:900
	ds_write_b16 v43, v51
	ds_write_b16 v43, v28 offset:450
	ds_write_b16 v43, v31 offset:900
	v_add_f16_e32 v28, v46, v33
	v_add_f16_e32 v28, v28, v29
	;; [unrolled: 1-line block ×3, first 2 shown]
	v_fma_f16 v29, v29, -0.5, v46
	v_sub_f16_e32 v30, v30, v41
	v_fma_f16 v31, v30, s5, v29
	v_fma_f16 v29, v30, s4, v29
	v_add_f16_e32 v30, v47, v32
	v_add_f16_e32 v32, v32, v36
	v_fma_f16 v32, v32, -0.5, v47
	v_sub_f16_e32 v33, v34, v35
	v_fma_f16 v34, v33, s5, v32
	v_fma_f16 v32, v33, s4, v32
	v_add_f16_e32 v33, v48, v27
	v_add_f16_e32 v27, v27, v38
	v_fma_f16 v27, v27, -0.5, v48
	v_sub_f16_e32 v35, v42, v37
	v_add_f16_e32 v30, v30, v36
	v_add_f16_e32 v33, v33, v38
	v_fma_f16 v36, v35, s5, v27
	v_fma_f16 v27, v35, s4, v27
	ds_write_b16 v0, v28 offset:1440
	ds_write_b16 v0, v31 offset:1890
	;; [unrolled: 1-line block ×3, first 2 shown]
	ds_write_b16 v39, v30
	ds_write_b16 v39, v34 offset:450
	ds_write_b16 v39, v32 offset:900
	;; [unrolled: 1-line block ×5, first 2 shown]
	s_waitcnt lgkmcnt(0)
	s_barrier
	s_and_saveexec_b64 s[0:1], vcc
	s_cbranch_execz .LBB0_13
; %bb.12:
	v_lshlrev_b32_e32 v0, 1, v16
	v_lshlrev_b64 v[27:28], 2, v[0:1]
	v_mov_b32_e32 v35, s9
	v_add_co_u32_e32 v27, vcc, s8, v27
	v_addc_co_u32_e32 v28, vcc, v35, v28, vcc
	global_load_dwordx2 v[27:28], v[27:28], off offset:2688
	v_lshlrev_b32_e32 v0, 1, v15
	v_lshlrev_b64 v[29:30], 2, v[0:1]
	v_lshlrev_b32_e32 v0, 1, v14
	v_add_co_u32_e32 v29, vcc, s8, v29
	v_addc_co_u32_e32 v30, vcc, v35, v30, vcc
	global_load_dwordx2 v[29:30], v[29:30], off offset:2688
	v_lshlrev_b64 v[31:32], 2, v[0:1]
	v_lshlrev_b32_e32 v0, 1, v17
	v_add_co_u32_e32 v31, vcc, s8, v31
	v_addc_co_u32_e32 v32, vcc, v35, v32, vcc
	global_load_dwordx2 v[31:32], v[31:32], off offset:2688
	v_lshlrev_b64 v[33:34], 2, v[0:1]
	s_movk_i32 s0, 0x1000
	v_add_co_u32_e32 v33, vcc, s8, v33
	v_addc_co_u32_e32 v34, vcc, v35, v34, vcc
	global_load_dwordx2 v[33:34], v[33:34], off offset:2688
	ds_read_u16 v0, v9 offset:3780
	ds_read_u16 v17, v9 offset:3510
	;; [unrolled: 1-line block ×10, first 2 shown]
	global_load_dwordx2 v[2:3], v[2:3], off offset:2688
	s_mov_b32 s1, 0xc22e4507
	ds_read_u16 v48, v9 offset:810
	s_waitcnt vmcnt(4) lgkmcnt(10)
	v_mul_f16_sdwa v44, v0, v28 dst_sel:DWORD dst_unused:UNUSED_PAD src0_sel:DWORD src1_sel:WORD_1
	v_mul_f16_sdwa v46, v25, v28 dst_sel:DWORD dst_unused:UNUSED_PAD src0_sel:DWORD src1_sel:WORD_1
	v_fma_f16 v25, v25, v28, -v44
	ds_read_u16 v44, v9 offset:1080
	s_waitcnt lgkmcnt(6)
	v_mul_f16_sdwa v43, v38, v27 dst_sel:DWORD dst_unused:UNUSED_PAD src0_sel:DWORD src1_sel:WORD_1
	v_mul_f16_sdwa v45, v26, v27 dst_sel:DWORD dst_unused:UNUSED_PAD src0_sel:DWORD src1_sel:WORD_1
	v_fma_f16 v26, v26, v27, -v43
	v_fma_f16 v27, v27, v38, v45
	v_fma_f16 v0, v28, v0, v46
	s_waitcnt vmcnt(3) lgkmcnt(5)
	v_mul_f16_sdwa v28, v39, v29 dst_sel:DWORD dst_unused:UNUSED_PAD src0_sel:DWORD src1_sel:WORD_1
	v_mul_f16_sdwa v43, v23, v29 dst_sel:DWORD dst_unused:UNUSED_PAD src0_sel:DWORD src1_sel:WORD_1
	;; [unrolled: 1-line block ×4, first 2 shown]
	v_sub_f16_e32 v46, v26, v25
	v_add_f16_e32 v47, v27, v0
	s_waitcnt lgkmcnt(0)
	v_add_f16_e32 v49, v27, v44
	v_add_f16_e32 v50, v26, v25
	;; [unrolled: 1-line block ×3, first 2 shown]
	v_fma_f16 v23, v23, v29, -v28
	v_fma_f16 v28, v29, v39, v43
	v_fma_f16 v17, v30, v17, v45
	v_sub_f16_e32 v27, v27, v0
	v_fma_f16 v24, v24, v30, -v38
	v_fma_f16 v38, v47, -0.5, v44
	v_add_f16_e32 v39, v0, v49
	v_fma_f16 v0, v50, -0.5, v22
	v_add_f16_e32 v22, v26, v25
	v_add_f16_e32 v26, v28, v17
	s_waitcnt vmcnt(2)
	v_mul_f16_sdwa v29, v40, v31 dst_sel:DWORD dst_unused:UNUSED_PAD src0_sel:DWORD src1_sel:WORD_1
	v_mul_f16_sdwa v30, v35, v32 dst_sel:DWORD dst_unused:UNUSED_PAD src0_sel:DWORD src1_sel:WORD_1
	v_sub_f16_e32 v25, v23, v24
	ds_read_u16 v43, v9 offset:540
	v_add_f16_e32 v45, v23, v24
	v_add_f16_e32 v23, v21, v23
	v_fma_f16 v47, v46, s4, v38
	v_fma_f16 v38, v46, s5, v38
	;; [unrolled: 1-line block ×4, first 2 shown]
	v_fma_f16 v0, v26, -0.5, v48
	v_fma_f16 v29, v19, v31, -v29
	v_add_f16_e32 v23, v23, v24
	v_fma_f16 v24, v25, s4, v0
	v_fma_f16 v25, v25, s5, v0
	v_fma_f16 v0, v20, v32, -v30
	v_mul_f16_sdwa v20, v20, v32 dst_sel:DWORD dst_unused:UNUSED_PAD src0_sel:DWORD src1_sel:WORD_1
	v_mul_f16_sdwa v19, v19, v31 dst_sel:DWORD dst_unused:UNUSED_PAD src0_sel:DWORD src1_sel:WORD_1
	v_fma_f16 v20, v32, v35, v20
	v_add_f16_e32 v35, v29, v0
	v_add_f16_e32 v44, v28, v48
	v_sub_f16_e32 v28, v28, v17
	v_fma_f16 v21, v45, -0.5, v21
	v_fma_f16 v19, v31, v40, v19
	ds_read_u16 v31, v9 offset:270
	v_fma_f16 v35, v35, -0.5, v13
	v_add_f16_e32 v13, v13, v29
	v_fma_f16 v26, v28, s5, v21
	v_fma_f16 v21, v28, s4, v21
	v_sub_f16_e32 v28, v29, v0
	v_add_f16_e32 v13, v13, v0
	s_waitcnt vmcnt(1)
	v_mul_f16_sdwa v0, v41, v33 dst_sel:DWORD dst_unused:UNUSED_PAD src0_sel:DWORD src1_sel:WORD_1
	v_mul_f16_sdwa v29, v36, v34 dst_sel:DWORD dst_unused:UNUSED_PAD src0_sel:DWORD src1_sel:WORD_1
	v_add_f16_e32 v30, v19, v20
	v_fma_f16 v0, v7, v33, -v0
	v_fma_f16 v29, v18, v34, -v29
	v_mul_f16_sdwa v7, v7, v33 dst_sel:DWORD dst_unused:UNUSED_PAD src0_sel:DWORD src1_sel:WORD_1
	v_mul_f16_sdwa v18, v18, v34 dst_sel:DWORD dst_unused:UNUSED_PAD src0_sel:DWORD src1_sel:WORD_1
	s_waitcnt lgkmcnt(1)
	v_fma_f16 v30, v30, -0.5, v43
	v_fma_f16 v7, v33, v41, v7
	v_fma_f16 v18, v34, v36, v18
	v_fma_f16 v32, v28, s4, v30
	v_fma_f16 v28, v28, s5, v30
	v_add_f16_e32 v30, v19, v43
	v_sub_f16_e32 v19, v19, v20
	v_add_f16_e32 v33, v7, v18
	v_add_f16_e32 v30, v20, v30
	v_fma_f16 v20, v19, s5, v35
	v_fma_f16 v19, v19, s4, v35
	v_sub_f16_e32 v35, v0, v29
	s_waitcnt lgkmcnt(0)
	v_fma_f16 v33, v33, -0.5, v31
	v_fma_f16 v34, v35, s4, v33
	v_fma_f16 v33, v35, s5, v33
	v_add_f16_e32 v35, v0, v29
	ds_read_u16 v9, v9
	v_fma_f16 v35, v35, -0.5, v5
	v_add_f16_e32 v0, v5, v0
	s_waitcnt vmcnt(0)
	v_mul_f16_sdwa v5, v42, v2 dst_sel:DWORD dst_unused:UNUSED_PAD src0_sel:DWORD src1_sel:WORD_1
	v_fma_f16 v5, v6, v2, -v5
	v_mul_f16_sdwa v6, v6, v2 dst_sel:DWORD dst_unused:UNUSED_PAD src0_sel:DWORD src1_sel:WORD_1
	v_add_f16_e32 v0, v0, v29
	v_mul_f16_sdwa v29, v37, v3 dst_sel:DWORD dst_unused:UNUSED_PAD src0_sel:DWORD src1_sel:WORD_1
	v_fma_f16 v2, v2, v42, v6
	v_mul_f16_sdwa v6, v12, v3 dst_sel:DWORD dst_unused:UNUSED_PAD src0_sel:DWORD src1_sel:WORD_1
	v_fma_f16 v29, v12, v3, -v29
	v_fma_f16 v3, v3, v37, v6
	v_add_f16_e32 v31, v7, v31
	v_sub_f16_e32 v7, v7, v18
	v_add_f16_e32 v6, v2, v3
	v_add_f16_e32 v31, v18, v31
	v_fma_f16 v18, v7, s5, v35
	v_fma_f16 v7, v7, s4, v35
	v_sub_f16_e32 v35, v5, v29
	s_waitcnt lgkmcnt(0)
	v_fma_f16 v6, v6, -0.5, v9
	v_add_f16_e32 v9, v2, v9
	v_fma_f16 v12, v35, s4, v6
	v_fma_f16 v6, v35, s5, v6
	v_add_f16_e32 v35, v3, v9
	v_add_f16_e32 v9, v5, v29
	v_fma_f16 v9, v9, -0.5, v4
	v_sub_f16_e32 v2, v2, v3
	v_fma_f16 v36, v2, s5, v9
	v_fma_f16 v37, v2, s4, v9
	v_add_f16_e32 v2, v4, v5
	v_add_f16_e32 v4, v2, v29
	v_mov_b32_e32 v9, v1
	v_mov_b32_e32 v2, s3
	v_add_co_u32_e32 v5, vcc, s2, v10
	v_addc_co_u32_e32 v10, vcc, v2, v11, vcc
	v_lshlrev_b64 v[2:3], 2, v[8:9]
	v_pack_b32_f16 v4, v4, v35
	v_add_co_u32_e32 v2, vcc, v5, v2
	v_addc_co_u32_e32 v3, vcc, v10, v3, vcc
	global_store_dword v[2:3], v4, off
	v_pack_b32_f16 v4, v37, v6
	global_store_dword v[2:3], v4, off offset:2700
	v_add_co_u32_e32 v4, vcc, s0, v2
	v_pack_b32_f16 v6, v36, v12
	v_addc_co_u32_e32 v5, vcc, 0, v3, vcc
	global_store_dword v[4:5], v6, off offset:1304
	v_mul_hi_u32 v6, v14, s1
	v_pack_b32_f16 v0, v0, v31
	global_store_dword v[2:3], v0, off offset:540
	v_pack_b32_f16 v0, v7, v33
	global_store_dword v[2:3], v0, off offset:3240
	;; [unrolled: 2-line block ×3, first 2 shown]
	v_lshrrev_b32_e32 v0, 9, v6
	v_mul_u32_u24_e32 v0, 0x546, v0
	v_lshlrev_b64 v[4:5], 2, v[0:1]
	v_pack_b32_f16 v0, v13, v30
	v_add_co_u32_e32 v4, vcc, v2, v4
	v_addc_co_u32_e32 v5, vcc, v3, v5, vcc
	v_mul_hi_u32 v6, v15, s1
	global_store_dword v[4:5], v0, off offset:1080
	v_pack_b32_f16 v0, v19, v28
	global_store_dword v[4:5], v0, off offset:3780
	v_add_co_u32_e32 v4, vcc, s0, v4
	v_pack_b32_f16 v0, v20, v32
	v_addc_co_u32_e32 v5, vcc, 0, v5, vcc
	global_store_dword v[4:5], v0, off offset:2384
	v_lshrrev_b32_e32 v0, 9, v6
	v_mul_u32_u24_e32 v0, 0x546, v0
	v_lshlrev_b64 v[4:5], 2, v[0:1]
	v_add_f16_e32 v17, v17, v44
	v_add_co_u32_e32 v4, vcc, v2, v4
	v_addc_co_u32_e32 v5, vcc, v3, v5, vcc
	s_movk_i32 s2, 0x654
	v_add_co_u32_e32 v6, vcc, s2, v4
	v_pack_b32_f16 v0, v23, v17
	v_addc_co_u32_e32 v7, vcc, 0, v5, vcc
	global_store_dword v[4:5], v0, off offset:1620
	v_pack_b32_f16 v0, v21, v25
	global_store_dword v[6:7], v0, off offset:2700
	v_mul_hi_u32 v6, v16, s1
	v_add_co_u32_e32 v4, vcc, s0, v4
	v_pack_b32_f16 v0, v26, v24
	v_addc_co_u32_e32 v5, vcc, 0, v5, vcc
	global_store_dword v[4:5], v0, off offset:2924
	v_lshrrev_b32_e32 v0, 9, v6
	v_mul_u32_u24_e32 v0, 0x546, v0
	v_lshlrev_b64 v[0:1], 2, v[0:1]
	v_pack_b32_f16 v4, v22, v39
	v_add_co_u32_e32 v0, vcc, v2, v0
	v_addc_co_u32_e32 v1, vcc, v3, v1, vcc
	v_add_co_u32_e32 v2, vcc, 0x870, v0
	v_addc_co_u32_e32 v3, vcc, 0, v1, vcc
	global_store_dword v[0:1], v4, off offset:2160
	v_pack_b32_f16 v4, v27, v38
	v_add_co_u32_e32 v0, vcc, 0x1000, v0
	global_store_dword v[2:3], v4, off offset:2700
	v_pack_b32_f16 v2, v46, v47
	v_addc_co_u32_e32 v1, vcc, 0, v1, vcc
	global_store_dword v[0:1], v2, off offset:3464
.LBB0_13:
	s_endpgm
	.section	.rodata,"a",@progbits
	.p2align	6, 0x0
	.amdhsa_kernel fft_rtc_fwd_len2025_factors_3_3_5_5_3_3_wgs_135_tpt_135_halfLds_half_ip_CI_unitstride_sbrr_dirReg
		.amdhsa_group_segment_fixed_size 0
		.amdhsa_private_segment_fixed_size 0
		.amdhsa_kernarg_size 88
		.amdhsa_user_sgpr_count 6
		.amdhsa_user_sgpr_private_segment_buffer 1
		.amdhsa_user_sgpr_dispatch_ptr 0
		.amdhsa_user_sgpr_queue_ptr 0
		.amdhsa_user_sgpr_kernarg_segment_ptr 1
		.amdhsa_user_sgpr_dispatch_id 0
		.amdhsa_user_sgpr_flat_scratch_init 0
		.amdhsa_user_sgpr_private_segment_size 0
		.amdhsa_uses_dynamic_stack 0
		.amdhsa_system_sgpr_private_segment_wavefront_offset 0
		.amdhsa_system_sgpr_workgroup_id_x 1
		.amdhsa_system_sgpr_workgroup_id_y 0
		.amdhsa_system_sgpr_workgroup_id_z 0
		.amdhsa_system_sgpr_workgroup_info 0
		.amdhsa_system_vgpr_workitem_id 0
		.amdhsa_next_free_vgpr 58
		.amdhsa_next_free_sgpr 22
		.amdhsa_reserve_vcc 1
		.amdhsa_reserve_flat_scratch 0
		.amdhsa_float_round_mode_32 0
		.amdhsa_float_round_mode_16_64 0
		.amdhsa_float_denorm_mode_32 3
		.amdhsa_float_denorm_mode_16_64 3
		.amdhsa_dx10_clamp 1
		.amdhsa_ieee_mode 1
		.amdhsa_fp16_overflow 0
		.amdhsa_exception_fp_ieee_invalid_op 0
		.amdhsa_exception_fp_denorm_src 0
		.amdhsa_exception_fp_ieee_div_zero 0
		.amdhsa_exception_fp_ieee_overflow 0
		.amdhsa_exception_fp_ieee_underflow 0
		.amdhsa_exception_fp_ieee_inexact 0
		.amdhsa_exception_int_div_zero 0
	.end_amdhsa_kernel
	.text
.Lfunc_end0:
	.size	fft_rtc_fwd_len2025_factors_3_3_5_5_3_3_wgs_135_tpt_135_halfLds_half_ip_CI_unitstride_sbrr_dirReg, .Lfunc_end0-fft_rtc_fwd_len2025_factors_3_3_5_5_3_3_wgs_135_tpt_135_halfLds_half_ip_CI_unitstride_sbrr_dirReg
                                        ; -- End function
	.section	.AMDGPU.csdata,"",@progbits
; Kernel info:
; codeLenInByte = 11108
; NumSgprs: 26
; NumVgprs: 58
; ScratchSize: 0
; MemoryBound: 0
; FloatMode: 240
; IeeeMode: 1
; LDSByteSize: 0 bytes/workgroup (compile time only)
; SGPRBlocks: 3
; VGPRBlocks: 14
; NumSGPRsForWavesPerEU: 26
; NumVGPRsForWavesPerEU: 58
; Occupancy: 4
; WaveLimiterHint : 1
; COMPUTE_PGM_RSRC2:SCRATCH_EN: 0
; COMPUTE_PGM_RSRC2:USER_SGPR: 6
; COMPUTE_PGM_RSRC2:TRAP_HANDLER: 0
; COMPUTE_PGM_RSRC2:TGID_X_EN: 1
; COMPUTE_PGM_RSRC2:TGID_Y_EN: 0
; COMPUTE_PGM_RSRC2:TGID_Z_EN: 0
; COMPUTE_PGM_RSRC2:TIDIG_COMP_CNT: 0
	.type	__hip_cuid_fe118364fbeff489,@object ; @__hip_cuid_fe118364fbeff489
	.section	.bss,"aw",@nobits
	.globl	__hip_cuid_fe118364fbeff489
__hip_cuid_fe118364fbeff489:
	.byte	0                               ; 0x0
	.size	__hip_cuid_fe118364fbeff489, 1

	.ident	"AMD clang version 19.0.0git (https://github.com/RadeonOpenCompute/llvm-project roc-6.4.0 25133 c7fe45cf4b819c5991fe208aaa96edf142730f1d)"
	.section	".note.GNU-stack","",@progbits
	.addrsig
	.addrsig_sym __hip_cuid_fe118364fbeff489
	.amdgpu_metadata
---
amdhsa.kernels:
  - .args:
      - .actual_access:  read_only
        .address_space:  global
        .offset:         0
        .size:           8
        .value_kind:     global_buffer
      - .offset:         8
        .size:           8
        .value_kind:     by_value
      - .actual_access:  read_only
        .address_space:  global
        .offset:         16
        .size:           8
        .value_kind:     global_buffer
      - .actual_access:  read_only
        .address_space:  global
        .offset:         24
        .size:           8
        .value_kind:     global_buffer
      - .offset:         32
        .size:           8
        .value_kind:     by_value
      - .actual_access:  read_only
        .address_space:  global
        .offset:         40
        .size:           8
        .value_kind:     global_buffer
      - .actual_access:  read_only
        .address_space:  global
        .offset:         48
        .size:           8
        .value_kind:     global_buffer
      - .offset:         56
        .size:           4
        .value_kind:     by_value
      - .actual_access:  read_only
        .address_space:  global
        .offset:         64
        .size:           8
        .value_kind:     global_buffer
      - .actual_access:  read_only
        .address_space:  global
        .offset:         72
        .size:           8
        .value_kind:     global_buffer
      - .address_space:  global
        .offset:         80
        .size:           8
        .value_kind:     global_buffer
    .group_segment_fixed_size: 0
    .kernarg_segment_align: 8
    .kernarg_segment_size: 88
    .language:       OpenCL C
    .language_version:
      - 2
      - 0
    .max_flat_workgroup_size: 135
    .name:           fft_rtc_fwd_len2025_factors_3_3_5_5_3_3_wgs_135_tpt_135_halfLds_half_ip_CI_unitstride_sbrr_dirReg
    .private_segment_fixed_size: 0
    .sgpr_count:     26
    .sgpr_spill_count: 0
    .symbol:         fft_rtc_fwd_len2025_factors_3_3_5_5_3_3_wgs_135_tpt_135_halfLds_half_ip_CI_unitstride_sbrr_dirReg.kd
    .uniform_work_group_size: 1
    .uses_dynamic_stack: false
    .vgpr_count:     58
    .vgpr_spill_count: 0
    .wavefront_size: 64
amdhsa.target:   amdgcn-amd-amdhsa--gfx906
amdhsa.version:
  - 1
  - 2
...

	.end_amdgpu_metadata
